;; amdgpu-corpus repo=ROCm/rocFFT kind=compiled arch=gfx1030 opt=O3
	.text
	.amdgcn_target "amdgcn-amd-amdhsa--gfx1030"
	.amdhsa_code_object_version 6
	.protected	fft_rtc_fwd_len128_factors_16_8_wgs_256_tpt_16_dp_op_CI_CI_sbcc_twdbase8_3step_dirReg ; -- Begin function fft_rtc_fwd_len128_factors_16_8_wgs_256_tpt_16_dp_op_CI_CI_sbcc_twdbase8_3step_dirReg
	.globl	fft_rtc_fwd_len128_factors_16_8_wgs_256_tpt_16_dp_op_CI_CI_sbcc_twdbase8_3step_dirReg
	.p2align	8
	.type	fft_rtc_fwd_len128_factors_16_8_wgs_256_tpt_16_dp_op_CI_CI_sbcc_twdbase8_3step_dirReg,@function
fft_rtc_fwd_len128_factors_16_8_wgs_256_tpt_16_dp_op_CI_CI_sbcc_twdbase8_3step_dirReg: ; @fft_rtc_fwd_len128_factors_16_8_wgs_256_tpt_16_dp_op_CI_CI_sbcc_twdbase8_3step_dirReg
; %bb.0:
	s_clause 0x1
	s_load_dwordx4 s[0:3], s[4:5], 0x18
	s_load_dwordx2 s[30:31], s[4:5], 0x28
	s_mov_b32 s7, 0
	s_mov_b64 s[24:25], 0
	s_waitcnt lgkmcnt(0)
	s_load_dwordx2 s[28:29], s[0:1], 0x8
	s_waitcnt lgkmcnt(0)
	s_add_u32 s8, s28, -1
	s_addc_u32 s9, s29, -1
	s_lshr_b64 s[8:9], s[8:9], 4
	s_add_u32 s34, s8, 1
	s_addc_u32 s35, s9, 0
	v_cmp_lt_u64_e64 s8, s[6:7], s[34:35]
	s_and_b32 vcc_lo, exec_lo, s8
	s_cbranch_vccnz .LBB0_2
; %bb.1:
	v_cvt_f32_u32_e32 v1, s34
	s_sub_i32 s9, 0, s34
	s_mov_b32 s25, s7
	v_rcp_iflag_f32_e32 v1, v1
	v_mul_f32_e32 v1, 0x4f7ffffe, v1
	v_cvt_u32_f32_e32 v1, v1
	v_readfirstlane_b32 s8, v1
	s_mul_i32 s9, s9, s8
	s_mul_hi_u32 s9, s8, s9
	s_add_i32 s8, s8, s9
	s_mul_hi_u32 s8, s6, s8
	s_mul_i32 s9, s8, s34
	s_add_i32 s10, s8, 1
	s_sub_i32 s9, s6, s9
	s_sub_i32 s11, s9, s34
	s_cmp_ge_u32 s9, s34
	s_cselect_b32 s8, s10, s8
	s_cselect_b32 s9, s11, s9
	s_add_i32 s10, s8, 1
	s_cmp_ge_u32 s9, s34
	s_cselect_b32 s24, s10, s8
.LBB0_2:
	s_load_dwordx4 s[20:23], s[2:3], 0x0
	s_load_dwordx4 s[12:15], s[30:31], 0x0
	s_load_dwordx4 s[16:19], s[4:5], 0x8
	s_mul_i32 s8, s24, s35
	s_mul_hi_u32 s9, s24, s34
	s_mul_i32 s10, s24, s34
	s_add_i32 s9, s9, s8
	s_sub_u32 s36, s6, s10
	s_subb_u32 s37, 0, s9
	s_clause 0x1
	s_load_dwordx2 s[26:27], s[4:5], 0x0
	s_load_dwordx4 s[8:11], s[4:5], 0x60
	v_alignbit_b32 v1, s37, s36, 28
	s_lshl_b64 s[4:5], s[36:37], 4
	s_waitcnt lgkmcnt(0)
	v_mul_lo_u32 v2, s22, v1
	v_mul_lo_u32 v1, s14, v1
	s_mul_hi_u32 s33, s22, s4
	s_mul_hi_u32 s38, s14, s4
	v_cmp_lt_u64_e64 s40, s[18:19], 3
	s_mul_i32 s36, s23, s4
	s_mul_i32 s37, s22, s4
	;; [unrolled: 1-line block ×3, first 2 shown]
	v_add_nc_u32_e32 v2, s33, v2
	v_add_nc_u32_e32 v3, s38, v1
	s_mul_i32 s33, s14, s4
	v_mov_b32_e32 v1, s37
	v_mov_b32_e32 v64, s33
	v_add_nc_u32_e32 v2, s36, v2
	v_add_nc_u32_e32 v65, s39, v3
	s_and_b32 vcc_lo, exec_lo, s40
	s_cbranch_vccnz .LBB0_11
; %bb.3:
	s_add_u32 s36, s30, 16
	s_addc_u32 s37, s31, 0
	s_add_u32 s38, s2, 16
	s_addc_u32 s39, s3, 0
	;; [unrolled: 2-line block ×3, first 2 shown]
	s_mov_b64 s[40:41], 2
	s_mov_b32 s42, 0
	s_branch .LBB0_5
.LBB0_4:                                ;   in Loop: Header=BB0_5 Depth=1
	s_load_dwordx2 s[48:49], s[38:39], 0x0
	s_load_dwordx2 s[50:51], s[36:37], 0x0
	s_mul_i32 s33, s44, s35
	s_mul_hi_u32 s35, s44, s34
	s_mul_i32 s43, s45, s34
	s_mul_i32 s45, s46, s45
	s_mul_hi_u32 s52, s46, s44
	s_mul_i32 s53, s47, s44
	s_add_i32 s33, s35, s33
	s_add_i32 s45, s52, s45
	s_mul_i32 s54, s46, s44
	s_add_i32 s35, s33, s43
	s_add_i32 s45, s45, s53
	s_sub_u32 s24, s24, s54
	s_subb_u32 s25, s25, s45
	s_mul_i32 s34, s44, s34
	s_waitcnt lgkmcnt(0)
	s_mul_i32 s33, s48, s25
	s_mul_hi_u32 s43, s48, s24
	s_mul_i32 s45, s48, s24
	s_mul_i32 s25, s50, s25
	s_mul_hi_u32 s48, s50, s24
	s_mul_i32 s44, s49, s24
	s_add_i32 s33, s43, s33
	s_add_i32 s25, s48, s25
	s_mul_i32 s43, s51, s24
	s_add_i32 s33, s33, s44
	s_add_i32 s25, s25, s43
	v_add_co_u32 v1, vcc_lo, s45, v1
	s_add_u32 s40, s40, 1
	s_mul_i32 s24, s50, s24
	s_addc_u32 s41, s41, 0
	v_add_co_ci_u32_e32 v2, vcc_lo, s33, v2, vcc_lo
	v_add_co_u32 v64, vcc_lo, s24, v64
	v_cmp_ge_u64_e64 s24, s[40:41], s[18:19]
	s_add_u32 s36, s36, 8
	s_addc_u32 s37, s37, 0
	v_add_co_ci_u32_e32 v65, vcc_lo, s25, v65, vcc_lo
	s_add_u32 s38, s38, 8
	s_addc_u32 s39, s39, 0
	s_add_u32 s0, s0, 8
	s_addc_u32 s1, s1, 0
	s_and_b32 vcc_lo, exec_lo, s24
	s_mov_b64 s[24:25], s[46:47]
	s_cbranch_vccnz .LBB0_9
.LBB0_5:                                ; =>This Inner Loop Header: Depth=1
	s_load_dwordx2 s[44:45], s[0:1], 0x0
	s_mov_b32 s33, -1
	s_waitcnt lgkmcnt(0)
	s_or_b64 s[46:47], s[24:25], s[44:45]
	s_mov_b32 s43, s47
                                        ; implicit-def: $sgpr46_sgpr47
	s_cmp_lg_u64 s[42:43], 0
	s_cbranch_scc0 .LBB0_7
; %bb.6:                                ;   in Loop: Header=BB0_5 Depth=1
	v_cvt_f32_u32_e32 v3, s44
	v_cvt_f32_u32_e32 v4, s45
	s_sub_u32 s46, 0, s44
	s_subb_u32 s47, 0, s45
	v_fmac_f32_e32 v3, 0x4f800000, v4
	v_rcp_f32_e32 v3, v3
	v_mul_f32_e32 v3, 0x5f7ffffc, v3
	v_mul_f32_e32 v4, 0x2f800000, v3
	v_trunc_f32_e32 v4, v4
	v_fmac_f32_e32 v3, 0xcf800000, v4
	v_cvt_u32_f32_e32 v4, v4
	v_cvt_u32_f32_e32 v3, v3
	v_readfirstlane_b32 s33, v4
	v_readfirstlane_b32 s43, v3
	s_mul_i32 s48, s46, s33
	s_mul_hi_u32 s50, s46, s43
	s_mul_i32 s49, s47, s43
	s_add_i32 s48, s50, s48
	s_mul_i32 s51, s46, s43
	s_add_i32 s48, s48, s49
	s_mul_hi_u32 s50, s43, s51
	s_mul_hi_u32 s52, s33, s51
	s_mul_i32 s49, s33, s51
	s_mul_hi_u32 s51, s43, s48
	s_mul_i32 s43, s43, s48
	s_mul_hi_u32 s53, s33, s48
	s_add_u32 s43, s50, s43
	s_addc_u32 s50, 0, s51
	s_add_u32 s43, s43, s49
	s_mul_i32 s48, s33, s48
	s_addc_u32 s43, s50, s52
	s_addc_u32 s49, s53, 0
	s_add_u32 s43, s43, s48
	s_addc_u32 s48, 0, s49
	v_add_co_u32 v3, s43, v3, s43
	s_cmp_lg_u32 s43, 0
	s_addc_u32 s33, s33, s48
	v_readfirstlane_b32 s43, v3
	s_mul_i32 s48, s46, s33
	s_mul_hi_u32 s49, s46, s43
	s_mul_i32 s47, s47, s43
	s_add_i32 s48, s49, s48
	s_mul_i32 s46, s46, s43
	s_add_i32 s48, s48, s47
	s_mul_hi_u32 s49, s33, s46
	s_mul_i32 s50, s33, s46
	s_mul_hi_u32 s46, s43, s46
	s_mul_hi_u32 s51, s43, s48
	s_mul_i32 s43, s43, s48
	s_mul_hi_u32 s47, s33, s48
	s_add_u32 s43, s46, s43
	s_addc_u32 s46, 0, s51
	s_add_u32 s43, s43, s50
	s_mul_i32 s48, s33, s48
	s_addc_u32 s43, s46, s49
	s_addc_u32 s46, s47, 0
	s_add_u32 s43, s43, s48
	s_addc_u32 s46, 0, s46
	v_add_co_u32 v3, s43, v3, s43
	s_cmp_lg_u32 s43, 0
	s_addc_u32 s33, s33, s46
	v_readfirstlane_b32 s43, v3
	s_mul_i32 s47, s24, s33
	s_mul_hi_u32 s46, s24, s33
	s_mul_hi_u32 s48, s25, s33
	s_mul_i32 s33, s25, s33
	s_mul_hi_u32 s49, s24, s43
	s_mul_hi_u32 s50, s25, s43
	s_mul_i32 s43, s25, s43
	s_add_u32 s47, s49, s47
	s_addc_u32 s46, 0, s46
	s_add_u32 s43, s47, s43
	s_addc_u32 s43, s46, s50
	s_addc_u32 s46, s48, 0
	s_add_u32 s43, s43, s33
	s_addc_u32 s46, 0, s46
	s_mul_hi_u32 s33, s44, s43
	s_mul_i32 s48, s44, s46
	s_mul_i32 s49, s44, s43
	s_add_i32 s33, s33, s48
	v_sub_co_u32 v3, s48, s24, s49
	s_mul_i32 s47, s45, s43
	s_add_i32 s33, s33, s47
	v_sub_co_u32 v4, s49, v3, s44
	s_sub_i32 s47, s25, s33
	s_cmp_lg_u32 s48, 0
	s_subb_u32 s47, s47, s45
	s_cmp_lg_u32 s49, 0
	v_readfirstlane_b32 s49, v4
	s_subb_u32 s47, s47, 0
	s_cmp_ge_u32 s47, s45
	s_cselect_b32 s50, -1, 0
	s_cmp_ge_u32 s49, s44
	s_cselect_b32 s49, -1, 0
	s_cmp_eq_u32 s47, s45
	s_cselect_b32 s47, s49, s50
	s_add_u32 s49, s43, 1
	s_addc_u32 s50, s46, 0
	s_add_u32 s51, s43, 2
	s_addc_u32 s52, s46, 0
	s_cmp_lg_u32 s47, 0
	s_cselect_b32 s49, s51, s49
	s_cselect_b32 s47, s52, s50
	s_cmp_lg_u32 s48, 0
	v_readfirstlane_b32 s48, v3
	s_subb_u32 s33, s25, s33
	s_cmp_ge_u32 s33, s45
	s_cselect_b32 s50, -1, 0
	s_cmp_ge_u32 s48, s44
	s_cselect_b32 s48, -1, 0
	s_cmp_eq_u32 s33, s45
	s_cselect_b32 s33, s48, s50
	s_cmp_lg_u32 s33, 0
	s_mov_b32 s33, 0
	s_cselect_b32 s47, s47, s46
	s_cselect_b32 s46, s49, s43
.LBB0_7:                                ;   in Loop: Header=BB0_5 Depth=1
	s_andn2_b32 vcc_lo, exec_lo, s33
	s_cbranch_vccnz .LBB0_4
; %bb.8:                                ;   in Loop: Header=BB0_5 Depth=1
	v_cvt_f32_u32_e32 v3, s44
	s_sub_i32 s43, 0, s44
	v_rcp_iflag_f32_e32 v3, v3
	v_mul_f32_e32 v3, 0x4f7ffffe, v3
	v_cvt_u32_f32_e32 v3, v3
	v_readfirstlane_b32 s33, v3
	s_mul_i32 s43, s43, s33
	s_mul_hi_u32 s43, s33, s43
	s_add_i32 s33, s33, s43
	s_mul_hi_u32 s33, s24, s33
	s_mul_i32 s43, s33, s44
	s_add_i32 s46, s33, 1
	s_sub_i32 s43, s24, s43
	s_sub_i32 s47, s43, s44
	s_cmp_ge_u32 s43, s44
	s_cselect_b32 s33, s46, s33
	s_cselect_b32 s43, s47, s43
	s_add_i32 s46, s33, 1
	s_cmp_ge_u32 s43, s44
	s_mov_b32 s47, s42
	s_cselect_b32 s46, s46, s33
	s_branch .LBB0_4
.LBB0_9:
	v_cmp_lt_u64_e64 s0, s[6:7], s[34:35]
	s_mov_b64 s[24:25], 0
	s_and_b32 vcc_lo, exec_lo, s0
	s_cbranch_vccnz .LBB0_11
; %bb.10:
	v_cvt_f32_u32_e32 v3, s34
	s_sub_i32 s1, 0, s34
	v_rcp_iflag_f32_e32 v3, v3
	v_mul_f32_e32 v3, 0x4f7ffffe, v3
	v_cvt_u32_f32_e32 v3, v3
	v_readfirstlane_b32 s0, v3
	s_mul_i32 s1, s1, s0
	s_mul_hi_u32 s1, s0, s1
	s_add_i32 s0, s0, s1
	s_mul_hi_u32 s0, s6, s0
	s_mul_i32 s1, s0, s34
	s_sub_i32 s1, s6, s1
	s_add_i32 s6, s0, 1
	s_sub_i32 s7, s1, s34
	s_cmp_ge_u32 s1, s34
	s_cselect_b32 s0, s6, s0
	s_cselect_b32 s1, s7, s1
	s_add_i32 s6, s0, 1
	s_cmp_ge_u32 s1, s34
	s_cselect_b32 s24, s6, s0
.LBB0_11:
	s_lshl_b64 s[6:7], s[18:19], 3
	v_lshrrev_b32_e32 v72, 4, v0
	s_add_u32 s0, s2, s6
	s_addc_u32 s1, s3, s7
	v_and_b32_e32 v75, 15, v0
	s_load_dwordx2 s[2:3], s[0:1], 0x0
	v_cmp_lt_u32_e32 vcc_lo, 0x7f, v0
	v_cmp_gt_u32_e64 s1, 0x80, v0
	v_or_b32_e32 v86, 8, v72
	v_or_b32_e32 v78, 16, v72
	v_or_b32_e32 v85, 24, v72
	v_or_b32_e32 v76, 32, v72
	v_or_b32_e32 v84, 40, v72
	v_or_b32_e32 v77, 48, v72
	v_or_b32_e32 v83, 56, v72
	v_or_b32_e32 v70, 64, v72
	v_or_b32_e32 v82, 0x48, v72
	v_or_b32_e32 v71, 0x50, v72
	v_or_b32_e32 v81, 0x58, v72
	v_or_b32_e32 v73, 0x60, v72
	v_or_b32_e32 v80, 0x68, v72
	v_or_b32_e32 v74, 0x70, v72
	v_or_b32_e32 v79, 0x78, v72
                                        ; implicit-def: $vgpr14_vgpr15
                                        ; implicit-def: $vgpr10_vgpr11
                                        ; implicit-def: $vgpr22_vgpr23
                                        ; implicit-def: $vgpr18_vgpr19
                                        ; implicit-def: $vgpr26_vgpr27
                                        ; implicit-def: $vgpr30_vgpr31
                                        ; implicit-def: $vgpr34_vgpr35
                                        ; implicit-def: $vgpr54_vgpr55
                                        ; implicit-def: $vgpr46_vgpr47
                                        ; implicit-def: $vgpr42_vgpr43
                                        ; implicit-def: $vgpr50_vgpr51
                                        ; implicit-def: $vgpr62_vgpr63
                                        ; implicit-def: $vgpr58_vgpr59
                                        ; implicit-def: $vgpr38_vgpr39
                                        ; implicit-def: $vgpr6_vgpr7
	s_waitcnt lgkmcnt(0)
	s_mul_i32 s0, s3, s24
	s_mul_hi_u32 s3, s2, s24
	s_mul_i32 s18, s2, s24
	s_add_i32 s3, s3, s0
	v_add_co_u32 v0, s0, s18, v1
	s_add_u32 s2, s30, s6
	v_add_co_ci_u32_e64 v1, s0, s3, v2, s0
	s_addc_u32 s3, s31, s7
	s_add_u32 s6, s4, 16
	s_addc_u32 s7, s5, 0
	v_lshlrev_b64 v[68:69], 4, v[0:1]
	v_cmp_le_u64_e64 s18, s[6:7], s[28:29]
                                        ; implicit-def: $vgpr2_vgpr3
	s_and_b32 s0, s1, s18
	s_and_saveexec_b32 s6, s0
	s_cbranch_execz .LBB0_13
; %bb.12:
	v_mad_u64_u32 v[0:1], null, s22, v75, 0
	v_mad_u64_u32 v[2:3], null, s20, v72, 0
	;; [unrolled: 1-line block ×3, first 2 shown]
	v_add_co_u32 v13, s0, s8, v68
	v_add_co_ci_u32_e64 v14, s0, s9, v69, s0
	v_mad_u64_u32 v[6:7], null, s23, v75, v[1:2]
	v_mov_b32_e32 v1, v5
	v_mad_u64_u32 v[9:10], null, s21, v72, v[3:4]
	v_mad_u64_u32 v[7:8], null, s20, v78, 0
	;; [unrolled: 1-line block ×3, first 2 shown]
	v_mov_b32_e32 v1, v6
	v_mad_u64_u32 v[11:12], null, s20, v85, 0
	v_mov_b32_e32 v3, v9
	v_mov_b32_e32 v6, v8
	v_lshlrev_b64 v[0:1], 4, v[0:1]
	v_mov_b32_e32 v5, v10
	v_mad_u64_u32 v[9:10], null, s20, v76, 0
	v_lshlrev_b64 v[2:3], 4, v[2:3]
	v_add_co_u32 v23, s0, v13, v0
	v_add_co_ci_u32_e64 v34, s0, v14, v1, s0
	v_mad_u64_u32 v[0:1], null, s21, v78, v[6:7]
	v_mov_b32_e32 v1, v12
	v_add_co_u32 v2, s0, v23, v2
	v_lshlrev_b64 v[4:5], 4, v[4:5]
	v_add_co_ci_u32_e64 v3, s0, v34, v3, s0
	v_mov_b32_e32 v8, v0
	v_mad_u64_u32 v[0:1], null, s21, v85, v[1:2]
	v_mov_b32_e32 v1, v10
	v_mad_u64_u32 v[13:14], null, s20, v84, 0
	v_add_co_u32 v15, s0, v23, v4
	v_add_co_ci_u32_e64 v16, s0, v34, v5, s0
	v_lshlrev_b64 v[4:5], 4, v[7:8]
	v_mov_b32_e32 v12, v0
	v_mad_u64_u32 v[0:1], null, s21, v76, v[1:2]
	v_mov_b32_e32 v1, v14
	v_mad_u64_u32 v[6:7], null, s20, v77, 0
	v_add_co_u32 v17, s0, v23, v4
	v_add_co_ci_u32_e64 v18, s0, v34, v5, s0
	v_lshlrev_b64 v[4:5], 4, v[11:12]
	;; [unrolled: 7-line block ×7, first 2 shown]
	v_mov_b32_e32 v14, v0
	v_mad_u64_u32 v[0:1], null, s21, v71, v[1:2]
	v_mad_u64_u32 v[8:9], null, s20, v73, 0
	v_add_co_u32 v32, s0, v23, v4
	v_add_co_ci_u32_e64 v33, s0, v34, v5, s0
	v_lshlrev_b64 v[4:5], 4, v[13:14]
	v_mov_b32_e32 v1, v11
	v_mov_b32_e32 v7, v0
	;; [unrolled: 1-line block ×3, first 2 shown]
	v_add_co_u32 v36, s0, v23, v4
	v_mad_u64_u32 v[11:12], null, s21, v81, v[1:2]
	v_add_co_ci_u32_e64 v37, s0, v34, v5, s0
	v_lshlrev_b64 v[4:5], 4, v[6:7]
	v_mad_u64_u32 v[0:1], null, s21, v73, v[0:1]
	v_mad_u64_u32 v[6:7], null, s20, v80, 0
	;; [unrolled: 1-line block ×3, first 2 shown]
	v_add_co_u32 v40, s0, v23, v4
	v_add_co_ci_u32_e64 v41, s0, v34, v5, s0
	v_lshlrev_b64 v[4:5], 4, v[10:11]
	v_mad_u64_u32 v[10:11], null, s20, v79, 0
	v_mov_b32_e32 v9, v0
	v_mov_b32_e32 v0, v7
	v_mov_b32_e32 v1, v13
	v_add_co_u32 v42, s0, v23, v4
	v_add_co_ci_u32_e64 v43, s0, v34, v5, s0
	v_mad_u64_u32 v[13:14], null, s21, v80, v[0:1]
	v_mad_u64_u32 v[0:1], null, s21, v74, v[1:2]
	v_mov_b32_e32 v1, v11
	v_lshlrev_b64 v[4:5], 4, v[8:9]
	v_mov_b32_e32 v7, v13
	v_mad_u64_u32 v[8:9], null, s21, v79, v[1:2]
	v_mov_b32_e32 v13, v0
	v_add_co_u32 v48, s0, v23, v4
	v_lshlrev_b64 v[30:31], 4, v[6:7]
	v_add_co_ci_u32_e64 v49, s0, v34, v5, s0
	v_mov_b32_e32 v11, v8
	v_lshlrev_b64 v[12:13], 4, v[12:13]
	s_clause 0x1
	global_load_dwordx4 v[4:7], v[2:3], off
	global_load_dwordx4 v[0:3], v[15:16], off
	v_add_co_u32 v50, s0, v23, v30
	v_lshlrev_b64 v[8:9], 4, v[10:11]
	v_add_co_ci_u32_e64 v51, s0, v34, v31, s0
	v_add_co_u32 v56, s0, v23, v12
	v_add_co_ci_u32_e64 v57, s0, v34, v13, s0
	v_add_co_u32 v58, s0, v23, v8
	v_add_co_ci_u32_e64 v59, s0, v34, v9, s0
	s_clause 0xd
	global_load_dwordx4 v[12:15], v[17:18], off
	global_load_dwordx4 v[8:11], v[19:20], off
	;; [unrolled: 1-line block ×14, first 2 shown]
.LBB0_13:
	s_or_b32 exec_lo, exec_lo, s6
	v_mov_b32_e32 v67, s5
	v_or_b32_e32 v66, s4, v75
	s_xor_b32 s4, s18, -1
	v_cmp_gt_u64_e64 s0, s[28:29], v[66:67]
	s_and_b32 s1, s1, s0
	s_and_b32 s1, s4, s1
	s_and_saveexec_b32 s4, s1
	s_cbranch_execz .LBB0_15
; %bb.14:
	s_waitcnt vmcnt(14)
	v_mad_u64_u32 v[0:1], null, s22, v75, 0
	v_mad_u64_u32 v[2:3], null, s20, v72, 0
	;; [unrolled: 1-line block ×3, first 2 shown]
	s_waitcnt vmcnt(12)
	v_mad_u64_u32 v[8:9], null, s20, v78, 0
	s_waitcnt vmcnt(9)
	v_mad_u64_u32 v[24:25], null, s20, v77, 0
	v_mad_u64_u32 v[6:7], null, s23, v75, v[1:2]
	v_mov_b32_e32 v1, v5
	v_mad_u64_u32 v[10:11], null, s21, v72, v[3:4]
	v_add_co_u32 v7, s1, s8, v68
	v_mad_u64_u32 v[11:12], null, s21, v86, v[1:2]
	v_mov_b32_e32 v1, v6
	v_mad_u64_u32 v[12:13], null, s20, v85, 0
	v_add_co_ci_u32_e64 v14, s1, s9, v69, s1
	v_lshlrev_b64 v[0:1], 4, v[0:1]
	v_mov_b32_e32 v6, v9
	v_mov_b32_e32 v5, v11
	;; [unrolled: 1-line block ×3, first 2 shown]
	v_mad_u64_u32 v[10:11], null, s20, v76, 0
	s_waitcnt vmcnt(5)
	v_add_co_u32 v55, s1, v7, v0
	s_waitcnt vmcnt(1)
	v_add_co_ci_u32_e64 v60, s1, v14, v1, s1
	v_lshlrev_b64 v[0:1], 4, v[4:5]
	v_mad_u64_u32 v[4:5], null, s21, v78, v[6:7]
	v_mov_b32_e32 v5, v13
	v_mad_u64_u32 v[14:15], null, s20, v84, 0
	v_lshlrev_b64 v[2:3], 4, v[2:3]
	v_mad_u64_u32 v[26:27], null, s20, v83, 0
	v_mad_u64_u32 v[16:17], null, s21, v85, v[5:6]
	v_mov_b32_e32 v9, v4
	v_add_co_u32 v2, s1, v55, v2
	v_add_co_ci_u32_e64 v3, s1, v60, v3, s1
	v_lshlrev_b64 v[8:9], 4, v[8:9]
	v_mov_b32_e32 v13, v16
	v_mad_u64_u32 v[16:17], null, s21, v76, v[11:12]
	v_add_co_u32 v0, s1, v55, v0
	v_lshlrev_b64 v[12:13], 4, v[12:13]
	v_add_co_ci_u32_e64 v1, s1, v60, v1, s1
	v_add_co_u32 v8, s1, v55, v8
	v_mad_u64_u32 v[17:18], null, s21, v84, v[15:16]
	v_mov_b32_e32 v11, v16
	v_add_co_ci_u32_e64 v9, s1, v60, v9, s1
	v_mov_b32_e32 v16, v25
	v_mad_u64_u32 v[30:31], null, s20, v70, 0
	v_mov_b32_e32 v15, v17
	v_lshlrev_b64 v[10:11], 4, v[10:11]
	v_add_co_u32 v17, s1, v55, v12
	v_add_co_ci_u32_e64 v18, s1, v60, v13, s1
	v_lshlrev_b64 v[12:13], 4, v[14:15]
	v_mad_u64_u32 v[14:15], null, s21, v77, v[16:17]
	v_add_co_u32 v19, s1, v55, v10
	v_mov_b32_e32 v10, v27
	v_mad_u64_u32 v[32:33], null, s20, v82, 0
	v_add_co_ci_u32_e64 v20, s1, v60, v11, s1
	v_add_co_u32 v28, s1, v55, v12
	v_mad_u64_u32 v[34:35], null, s21, v83, v[10:11]
	v_add_co_ci_u32_e64 v29, s1, v60, v13, s1
	s_clause 0x1
	global_load_dwordx4 v[4:7], v[2:3], off
	global_load_dwordx4 v[0:3], v[0:1], off
	v_mov_b32_e32 v25, v14
	s_clause 0x3
	global_load_dwordx4 v[12:15], v[8:9], off
	global_load_dwordx4 v[8:11], v[17:18], off
	global_load_dwordx4 v[20:23], v[19:20], off
	global_load_dwordx4 v[16:19], v[28:29], off
	v_mov_b32_e32 v28, v31
	v_mov_b32_e32 v29, v33
	;; [unrolled: 1-line block ×3, first 2 shown]
	v_lshlrev_b64 v[24:25], 4, v[24:25]
	v_mad_u64_u32 v[40:41], null, s20, v71, 0
	v_mad_u64_u32 v[33:34], null, s21, v70, v[28:29]
	;; [unrolled: 1-line block ×3, first 2 shown]
	v_lshlrev_b64 v[26:27], 4, v[26:27]
	v_add_co_u32 v24, s1, v55, v24
	v_add_co_ci_u32_e64 v25, s1, v60, v25, s1
	v_mov_b32_e32 v31, v33
	v_mov_b32_e32 v33, v28
	v_add_co_u32 v34, s1, v55, v26
	v_mad_u64_u32 v[42:43], null, s20, v81, 0
	v_add_co_ci_u32_e64 v35, s1, v60, v27, s1
	v_lshlrev_b64 v[26:27], 4, v[30:31]
	v_lshlrev_b64 v[29:30], 4, v[32:33]
	v_mov_b32_e32 v28, v41
	v_mad_u64_u32 v[44:45], null, s20, v73, 0
	v_mad_u64_u32 v[31:32], null, s21, v71, v[28:29]
	v_add_co_u32 v32, s1, v55, v26
	v_mov_b32_e32 v26, v43
	v_add_co_ci_u32_e64 v33, s1, v60, v27, s1
	v_add_co_u32 v36, s1, v55, v29
	v_mad_u64_u32 v[46:47], null, s21, v81, v[26:27]
	v_mad_u64_u32 v[47:48], null, s20, v80, 0
	v_mov_b32_e32 v41, v31
	v_add_co_ci_u32_e64 v37, s1, v60, v30, s1
	s_clause 0x3
	global_load_dwordx4 v[24:27], v[24:25], off
	global_load_dwordx4 v[28:31], v[34:35], off
	;; [unrolled: 1-line block ×4, first 2 shown]
	v_mov_b32_e32 v43, v46
	v_lshlrev_b64 v[40:41], 4, v[40:41]
	v_mov_b32_e32 v46, v48
	v_lshlrev_b64 v[42:43], 4, v[42:43]
	v_mad_u64_u32 v[48:49], null, s21, v73, v[45:46]
	v_mad_u64_u32 v[49:50], null, s20, v74, 0
	;; [unrolled: 1-line block ×4, first 2 shown]
	v_mov_b32_e32 v45, v48
	v_add_co_u32 v40, s1, v55, v40
	v_mov_b32_e32 v46, v50
	v_mov_b32_e32 v48, v51
	v_lshlrev_b64 v[44:45], 4, v[44:45]
	v_add_co_ci_u32_e64 v41, s1, v60, v41, s1
	v_mad_u64_u32 v[50:51], null, s21, v74, v[46:47]
	v_mov_b32_e32 v46, v53
	v_add_co_u32 v42, s1, v55, v42
	v_add_co_ci_u32_e64 v43, s1, v60, v43, s1
	v_mad_u64_u32 v[53:54], null, s21, v79, v[46:47]
	v_lshlrev_b64 v[46:47], 4, v[47:48]
	s_waitcnt vmcnt(10)
	v_add_co_u32 v56, s1, v55, v44
	v_add_co_ci_u32_e64 v57, s1, v60, v45, s1
	v_lshlrev_b64 v[44:45], 4, v[49:50]
	v_add_co_u32 v48, s1, v55, v46
	v_add_co_ci_u32_e64 v49, s1, v60, v47, s1
	v_lshlrev_b64 v[46:47], 4, v[52:53]
	v_add_co_u32 v58, s1, v55, v44
	v_add_co_ci_u32_e64 v59, s1, v60, v45, s1
	v_add_co_u32 v67, s1, v55, v46
	v_add_co_ci_u32_e64 v68, s1, v60, v47, s1
	s_clause 0x5
	global_load_dwordx4 v[52:55], v[40:41], off
	global_load_dwordx4 v[44:47], v[42:43], off
	;; [unrolled: 1-line block ×6, first 2 shown]
.LBB0_15:
	s_or_b32 exec_lo, exec_lo, s4
	v_lshlrev_b32_e32 v67, 8, v72
	s_and_saveexec_b32 s1, vcc_lo
	s_xor_b32 s1, exec_lo, s1
; %bb.16:
	v_lshlrev_b32_e32 v67, 8, v72
                                        ; implicit-def: $vgpr2_vgpr3
                                        ; implicit-def: $vgpr14_vgpr15
                                        ; implicit-def: $vgpr10_vgpr11
                                        ; implicit-def: $vgpr22_vgpr23
                                        ; implicit-def: $vgpr18_vgpr19
                                        ; implicit-def: $vgpr26_vgpr27
                                        ; implicit-def: $vgpr30_vgpr31
                                        ; implicit-def: $vgpr34_vgpr35
                                        ; implicit-def: $vgpr54_vgpr55
                                        ; implicit-def: $vgpr46_vgpr47
                                        ; implicit-def: $vgpr42_vgpr43
                                        ; implicit-def: $vgpr50_vgpr51
                                        ; implicit-def: $vgpr62_vgpr63
                                        ; implicit-def: $vgpr58_vgpr59
                                        ; implicit-def: $vgpr38_vgpr39
                                        ; implicit-def: $vgpr6_vgpr7
; %bb.17:
	s_or_saveexec_b32 s1, s1
	v_lshlrev_b32_e32 v68, 4, v75
	s_xor_b32 exec_lo, exec_lo, s1
	s_cbranch_execz .LBB0_19
; %bb.18:
	s_waitcnt vmcnt(7)
	v_add_f64 v[34:35], v[6:7], -v[34:35]
	s_waitcnt vmcnt(3)
	v_add_f64 v[40:41], v[20:21], -v[40:41]
	v_add_f64 v[54:55], v[14:15], -v[54:55]
	s_waitcnt vmcnt(1)
	v_add_f64 v[60:61], v[24:25], -v[60:61]
	v_add_f64 v[52:53], v[12:13], -v[52:53]
	;; [unrolled: 1-line block ×6, first 2 shown]
	s_waitcnt vmcnt(0)
	v_add_f64 v[56:57], v[28:29], -v[56:57]
	v_add_f64 v[44:45], v[8:9], -v[44:45]
	;; [unrolled: 1-line block ×7, first 2 shown]
	s_mov_b32 s4, 0x667f3bcd
	s_mov_b32 s5, 0x3fe6a09e
	;; [unrolled: 1-line block ×6, first 2 shown]
	v_fma_f64 v[6:7], v[6:7], 2.0, -v[34:35]
	v_add_f64 v[79:80], v[40:41], v[34:35]
	v_fma_f64 v[20:21], v[20:21], 2.0, -v[40:41]
	v_add_f64 v[81:82], v[54:55], v[60:61]
	v_fma_f64 v[12:13], v[12:13], 2.0, -v[52:53]
	v_add_f64 v[83:84], v[52:53], -v[62:63]
	v_fma_f64 v[14:15], v[14:15], 2.0, -v[54:55]
	v_add_f64 v[85:86], v[48:49], v[38:39]
	v_fma_f64 v[26:27], v[26:27], 2.0, -v[62:63]
	v_add_f64 v[87:88], v[46:47], v[56:57]
	v_fma_f64 v[8:9], v[8:9], 2.0, -v[44:45]
	v_add_f64 v[89:90], v[44:45], -v[58:59]
	v_fma_f64 v[0:1], v[0:1], 2.0, -v[36:37]
	v_add_f64 v[91:92], v[36:37], -v[50:51]
	;; [unrolled: 2-line block ×3, first 2 shown]
	v_fma_f64 v[22:23], v[22:23], 2.0, -v[42:43]
	v_fma_f64 v[28:29], v[28:29], 2.0, -v[56:57]
	;; [unrolled: 1-line block ×10, first 2 shown]
	v_fma_f64 v[48:49], v[81:82], s[4:5], v[79:80]
	v_fma_f64 v[42:43], v[52:53], 2.0, -v[83:84]
	s_mov_b32 s20, 0xa6aea964
	v_fma_f64 v[38:39], v[38:39], 2.0, -v[85:86]
	v_add_f64 v[26:27], v[14:15], -v[26:27]
	v_fma_f64 v[46:47], v[46:47], 2.0, -v[87:88]
	v_fma_f64 v[50:51], v[87:88], s[4:5], v[85:86]
	v_fma_f64 v[44:45], v[44:45], 2.0, -v[89:90]
	s_mov_b32 s21, 0x3fd87de2
	v_fma_f64 v[36:37], v[36:37], 2.0, -v[91:92]
	v_add_f64 v[16:17], v[0:1], -v[16:17]
	v_fma_f64 v[32:33], v[32:33], 2.0, -v[93:94]
	v_add_f64 v[22:23], v[6:7], -v[22:23]
	v_add_f64 v[28:29], v[8:9], -v[28:29]
	;; [unrolled: 1-line block ×4, first 2 shown]
	v_fma_f64 v[52:53], v[89:90], s[4:5], v[91:92]
	v_add_f64 v[18:19], v[2:3], -v[18:19]
	v_fma_f64 v[54:55], v[83:84], s[4:5], v[93:94]
	v_add_f64 v[30:31], v[10:11], -v[30:31]
	s_mov_b32 s23, 0xbfd87de2
	v_fma_f64 v[56:57], v[40:41], s[6:7], v[34:35]
	v_fma_f64 v[48:49], v[83:84], s[4:5], v[48:49]
	s_mov_b32 s22, s20
	s_mov_b32 s29, 0xbfed906b
	;; [unrolled: 1-line block ×3, first 2 shown]
	v_fma_f64 v[14:15], v[14:15], 2.0, -v[26:27]
	v_fma_f64 v[58:59], v[46:47], s[6:7], v[38:39]
	v_fma_f64 v[50:51], v[89:90], s[4:5], v[50:51]
	v_lshlrev_b32_e32 v69, 12, v72
	v_fma_f64 v[60:61], v[44:45], s[6:7], v[36:37]
	v_fma_f64 v[0:1], v[0:1], 2.0, -v[16:17]
	v_fma_f64 v[62:63], v[42:43], s[6:7], v[32:33]
	v_fma_f64 v[6:7], v[6:7], 2.0, -v[22:23]
	v_fma_f64 v[8:9], v[8:9], 2.0, -v[28:29]
	;; [unrolled: 1-line block ×4, first 2 shown]
	v_add_f64 v[83:84], v[24:25], v[22:23]
	v_fma_f64 v[2:3], v[2:3], 2.0, -v[18:19]
	v_add_f64 v[24:25], v[28:29], v[18:19]
	v_fma_f64 v[10:11], v[10:11], 2.0, -v[30:31]
	v_fma_f64 v[28:29], v[87:88], s[6:7], v[52:53]
	v_fma_f64 v[52:53], v[81:82], s[6:7], v[54:55]
	v_add_f64 v[30:31], v[16:17], -v[30:31]
	v_add_f64 v[54:55], v[20:21], -v[26:27]
	v_fma_f64 v[56:57], v[42:43], s[4:5], v[56:57]
	v_add3_u32 v69, 0, v69, v68
	v_fma_f64 v[42:43], v[44:45], s[4:5], v[58:59]
	v_fma_f64 v[58:59], v[79:80], 2.0, -v[48:49]
	v_fma_f64 v[26:27], v[46:47], s[6:7], v[60:61]
	v_fma_f64 v[44:45], v[40:41], s[6:7], v[62:63]
	v_add_f64 v[40:41], v[6:7], -v[14:15]
	v_add_f64 v[8:9], v[0:1], -v[8:9]
	;; [unrolled: 1-line block ×3, first 2 shown]
	v_fma_f64 v[12:13], v[85:86], 2.0, -v[50:51]
	v_fma_f64 v[60:61], v[22:23], 2.0, -v[83:84]
	;; [unrolled: 1-line block ×3, first 2 shown]
	v_add_f64 v[14:15], v[2:3], -v[10:11]
	v_fma_f64 v[18:19], v[91:92], 2.0, -v[28:29]
	v_fma_f64 v[79:80], v[93:94], 2.0, -v[52:53]
	;; [unrolled: 1-line block ×5, first 2 shown]
	v_fma_f64 v[10:11], v[50:51], s[8:9], v[48:49]
	v_fma_f64 v[20:21], v[24:25], s[4:5], v[83:84]
	v_fma_f64 v[34:35], v[38:39], 2.0, -v[42:43]
	v_fma_f64 v[22:23], v[30:31], s[4:5], v[54:55]
	v_fma_f64 v[38:39], v[42:43], s[20:21], v[56:57]
	v_fma_f64 v[36:37], v[36:37], 2.0, -v[26:27]
	v_fma_f64 v[87:88], v[32:33], 2.0, -v[44:45]
	v_fma_f64 v[32:33], v[28:29], s[8:9], v[52:53]
	v_fma_f64 v[93:94], v[6:7], 2.0, -v[40:41]
	v_fma_f64 v[99:100], v[0:1], 2.0, -v[8:9]
	;; [unrolled: 1-line block ×3, first 2 shown]
	v_fma_f64 v[89:90], v[12:13], s[22:23], v[58:59]
	v_fma_f64 v[105:106], v[26:27], s[20:21], v[44:45]
	;; [unrolled: 1-line block ×3, first 2 shown]
	v_fma_f64 v[95:96], v[2:3], 2.0, -v[14:15]
	v_fma_f64 v[103:104], v[18:19], s[22:23], v[79:80]
	v_fma_f64 v[101:102], v[16:17], s[6:7], v[81:82]
	;; [unrolled: 1-line block ×3, first 2 shown]
	v_add_f64 v[10:11], v[8:9], v[40:41]
	v_fma_f64 v[107:108], v[34:35], s[28:29], v[85:86]
	v_add_f64 v[8:9], v[46:47], -v[14:15]
	v_fma_f64 v[6:7], v[30:31], s[4:5], v[20:21]
	v_fma_f64 v[4:5], v[24:25], s[6:7], v[22:23]
	;; [unrolled: 1-line block ×5, first 2 shown]
	v_add_f64 v[24:25], v[97:98], -v[99:100]
	v_fma_f64 v[18:19], v[18:19], s[8:9], v[89:90]
	v_fma_f64 v[22:23], v[16:17], s[4:5], v[91:92]
	v_add_f64 v[26:27], v[93:94], -v[95:96]
	v_fma_f64 v[16:17], v[12:13], s[28:29], v[103:104]
	v_fma_f64 v[12:13], v[42:43], s[28:29], v[105:106]
	;; [unrolled: 1-line block ×3, first 2 shown]
	v_fma_f64 v[42:43], v[40:41], 2.0, -v[10:11]
	v_fma_f64 v[30:31], v[36:37], s[20:21], v[107:108]
	v_fma_f64 v[40:41], v[46:47], 2.0, -v[8:9]
	v_fma_f64 v[38:39], v[83:84], 2.0, -v[6:7]
	;; [unrolled: 1-line block ×4, first 2 shown]
	v_fma_f64 v[28:29], v[34:35], s[22:23], v[109:110]
	v_fma_f64 v[34:35], v[48:49], 2.0, -v[2:3]
	v_fma_f64 v[32:33], v[52:53], 2.0, -v[0:1]
	;; [unrolled: 1-line block ×11, first 2 shown]
	ds_write_b128 v69, v[8:11] offset:3072
	ds_write_b128 v69, v[4:7] offset:3584
	;; [unrolled: 1-line block ×9, first 2 shown]
	ds_write_b128 v69, v[56:59]
	ds_write_b128 v69, v[52:55] offset:512
	ds_write_b128 v69, v[48:51] offset:768
	;; [unrolled: 1-line block ×6, first 2 shown]
.LBB0_19:
	s_or_b32 exec_lo, exec_lo, s1
	s_or_b32 s0, s18, s0
	s_waitcnt vmcnt(0) lgkmcnt(0)
	s_barrier
	buffer_gl0_inv
	s_and_saveexec_b32 s1, s0
	s_cbranch_execz .LBB0_21
; %bb.20:
	v_mul_u32_u24_e32 v0, 7, v72
	v_mul_lo_u32 v29, v66, v74
	v_mov_b32_e32 v28, 4
	v_add3_u32 v62, 0, v67, v68
	v_mul_lo_u32 v69, v66, v73
	v_lshlrev_b32_e32 v0, 4, v0
	v_mul_lo_u32 v105, v66, v71
	v_mul_lo_u32 v106, v66, v70
	v_mul_lo_u32 v107, v66, v77
	v_lshlrev_b32_sdwa v1, v28, v29 dst_sel:DWORD dst_unused:UNUSED_PAD src0_sel:DWORD src1_sel:BYTE_0
	s_clause 0x6
	global_load_dwordx4 v[18:21], v0, s[26:27]
	global_load_dwordx4 v[22:25], v0, s[26:27] offset:64
	global_load_dwordx4 v[30:33], v0, s[26:27] offset:32
	;; [unrolled: 1-line block ×6, first 2 shown]
	v_bfe_u32 v0, v29, 8, 8
	v_bfe_u32 v16, v69, 8, 8
	v_lshlrev_b32_sdwa v26, v28, v69 dst_sel:DWORD dst_unused:UNUSED_PAD src0_sel:DWORD src1_sel:BYTE_0
	v_bfe_u32 v63, v105, 8, 8
	v_lshlrev_b32_sdwa v67, v28, v105 dst_sel:DWORD dst_unused:UNUSED_PAD src0_sel:DWORD src1_sel:BYTE_0
	v_lshl_or_b32 v0, v0, 4, 0x1000
	v_lshl_or_b32 v27, v16, 4, 0x1000
	v_bfe_u32 v29, v29, 16, 8
	s_clause 0x1
	global_load_dwordx4 v[38:41], v1, s[16:17]
	global_load_dwordx4 v[42:45], v0, s[16:17]
	ds_read_b128 v[46:49], v62 offset:4096
	ds_read_b128 v[50:53], v62 offset:20480
	;; [unrolled: 1-line block ×3, first 2 shown]
	ds_read_b128 v[0:3], v62
	ds_read_b128 v[58:61], v62 offset:16384
	s_clause 0x1
	global_load_dwordx4 v[79:82], v26, s[16:17]
	global_load_dwordx4 v[83:86], v27, s[16:17]
	ds_read_b128 v[87:90], v62 offset:28672
	ds_read_b128 v[91:94], v62 offset:8192
	;; [unrolled: 1-line block ×3, first 2 shown]
	v_lshl_or_b32 v68, v63, 4, 0x1000
	v_lshl_or_b32 v29, v29, 4, 0x2000
	v_lshlrev_b64 v[64:65], 4, v[64:65]
	s_mov_b32 s5, 0xbfe6a09e
	s_waitcnt vmcnt(10) lgkmcnt(7)
	v_mul_f64 v[16:17], v[48:49], v[20:21]
	v_mul_f64 v[20:21], v[46:47], v[20:21]
	s_waitcnt vmcnt(9) lgkmcnt(6)
	v_mul_f64 v[26:27], v[52:53], v[24:25]
	v_mul_f64 v[24:25], v[50:51], v[24:25]
	;; [unrolled: 3-line block ×3, first 2 shown]
	s_waitcnt vmcnt(5) lgkmcnt(1)
	v_mul_f64 v[103:104], v[91:92], v[6:7]
	v_fma_f64 v[16:17], v[46:47], v[18:19], -v[16:17]
	v_fma_f64 v[18:19], v[48:49], v[18:19], v[20:21]
	s_clause 0x1
	global_load_dwordx4 v[46:49], v67, s[16:17]
	global_load_dwordx4 v[99:102], v68, s[16:17]
	v_mul_f64 v[67:68], v[87:88], v[36:37]
	v_fma_f64 v[20:21], v[50:51], v[22:23], -v[26:27]
	v_mul_f64 v[26:27], v[89:90], v[36:37]
	v_bfe_u32 v36, v106, 8, 8
	v_fma_f64 v[22:23], v[52:53], v[22:23], v[24:25]
	v_mul_f64 v[50:51], v[58:59], v[10:11]
	v_mul_f64 v[52:53], v[60:61], v[10:11]
	v_fma_f64 v[10:11], v[56:57], v[30:31], v[62:63]
	v_fma_f64 v[24:25], v[54:55], v[30:31], -v[32:33]
	v_lshlrev_b32_sdwa v30, v28, v106 dst_sel:DWORD dst_unused:UNUSED_PAD src0_sel:DWORD src1_sel:BYTE_0
	v_lshl_or_b32 v36, v36, 4, 0x1000
	v_mul_f64 v[62:63], v[93:94], v[6:7]
	v_bfe_u32 v54, v107, 8, 8
	v_bfe_u32 v55, v69, 16, 8
	v_lshl_or_b32 v69, v54, 4, 0x1000
	v_lshl_or_b32 v55, v55, 4, 0x2000
	v_fma_f64 v[6:7], v[89:90], v[34:35], v[67:68]
	s_waitcnt vmcnt(6) lgkmcnt(0)
	v_mul_f64 v[67:68], v[97:98], v[14:15]
	v_fma_f64 v[26:27], v[87:88], v[34:35], -v[26:27]
	s_clause 0x1
	global_load_dwordx4 v[30:33], v30, s[16:17]
	global_load_dwordx4 v[34:37], v36, s[16:17]
	v_mul_f64 v[14:15], v[95:96], v[14:15]
	v_fma_f64 v[87:88], v[60:61], v[8:9], v[50:51]
	v_lshlrev_b32_sdwa v50, v28, v107 dst_sel:DWORD dst_unused:UNUSED_PAD src0_sel:DWORD src1_sel:BYTE_0
	v_fma_f64 v[8:9], v[58:59], v[8:9], -v[52:53]
	s_clause 0x1
	global_load_dwordx4 v[50:53], v50, s[16:17]
	global_load_dwordx4 v[54:57], v55, s[16:17]
	v_fma_f64 v[62:63], v[91:92], v[4:5], -v[62:63]
	global_load_dwordx4 v[58:61], v29, s[16:17]
	s_waitcnt vmcnt(9)
	v_mul_f64 v[89:90], v[40:41], v[44:45]
	v_mul_f64 v[44:45], v[38:39], v[44:45]
	v_fma_f64 v[4:5], v[93:94], v[4:5], v[103:104]
	v_add_f64 v[22:23], v[18:19], -v[22:23]
	v_add_f64 v[20:21], v[16:17], -v[20:21]
	;; [unrolled: 1-line block ×3, first 2 shown]
	v_fma_f64 v[67:68], v[95:96], v[12:13], -v[67:68]
	v_add_f64 v[26:27], v[24:25], -v[26:27]
	v_fma_f64 v[91:92], v[97:98], v[12:13], v[14:15]
	global_load_dwordx4 v[12:15], v69, s[16:17]
	v_mul_lo_u32 v29, v66, v76
	v_bfe_u32 v97, v105, 16, 8
	v_add_f64 v[8:9], v[0:1], -v[8:9]
	v_lshl_or_b32 v103, v97, 4, 0x2000
	v_bfe_u32 v69, v29, 8, 8
	v_lshlrev_b32_sdwa v95, v28, v29 dst_sel:DWORD dst_unused:UNUSED_PAD src0_sel:DWORD src1_sel:BYTE_0
	v_fma_f64 v[89:90], v[38:39], v[42:43], -v[89:90]
	v_fma_f64 v[93:94], v[40:41], v[42:43], v[44:45]
	v_bfe_u32 v29, v29, 16, 8
	v_lshl_or_b32 v69, v69, 4, 0x1000
	s_clause 0x1
	global_load_dwordx4 v[38:41], v95, s[16:17]
	global_load_dwordx4 v[42:45], v69, s[16:17]
	s_waitcnt vmcnt(10)
	v_mul_f64 v[95:96], v[81:82], v[85:86]
	v_mul_f64 v[85:86], v[79:80], v[85:86]
	v_bfe_u32 v69, v106, 16, 8
	v_lshl_or_b32 v29, v29, 4, 0x2000
	v_add_f64 v[91:92], v[4:5], -v[91:92]
	v_fma_f64 v[24:25], v[24:25], 2.0, -v[26:27]
	v_fma_f64 v[0:1], v[0:1], 2.0, -v[8:9]
	v_lshl_or_b32 v69, v69, 4, 0x2000
	v_add_f64 v[26:27], v[22:23], v[26:27]
	v_fma_f64 v[10:11], v[10:11], 2.0, -v[6:7]
	v_fma_f64 v[18:19], v[18:19], 2.0, -v[22:23]
	;; [unrolled: 1-line block ×3, first 2 shown]
	v_add_f64 v[6:7], v[20:21], -v[6:7]
	v_fma_f64 v[95:96], v[79:80], v[83:84], -v[95:96]
	v_fma_f64 v[97:98], v[81:82], v[83:84], v[85:86]
	s_clause 0x1
	global_load_dwordx4 v[79:82], v69, s[16:17]
	global_load_dwordx4 v[83:86], v103, s[16:17]
	v_fma_f64 v[4:5], v[4:5], 2.0, -v[91:92]
	v_add_f64 v[91:92], v[8:9], -v[91:92]
	v_fma_f64 v[22:23], v[22:23], 2.0, -v[26:27]
	v_add_f64 v[10:11], v[18:19], -v[10:11]
	v_add_f64 v[24:25], v[16:17], -v[24:25]
	v_fma_f64 v[20:21], v[20:21], 2.0, -v[6:7]
	v_fma_f64 v[8:9], v[8:9], 2.0, -v[91:92]
	;; [unrolled: 1-line block ×4, first 2 shown]
	s_waitcnt vmcnt(10)
	v_mul_f64 v[103:104], v[48:49], v[101:102]
	v_mul_f64 v[101:102], v[46:47], v[101:102]
	v_fma_f64 v[103:104], v[46:47], v[99:100], -v[103:104]
	v_fma_f64 v[99:100], v[48:49], v[99:100], v[101:102]
	v_bfe_u32 v46, v107, 16, 8
	s_waitcnt vmcnt(8)
	v_mul_f64 v[101:102], v[32:33], v[36:37]
	v_mul_f64 v[36:37], v[30:31], v[36:37]
	v_lshl_or_b32 v69, v46, 4, 0x2000
	global_load_dwordx4 v[46:49], v29, s[16:17]
	v_fma_f64 v[101:102], v[30:31], v[34:35], -v[101:102]
	v_fma_f64 v[105:106], v[32:33], v[34:35], v[36:37]
	s_waitcnt vmcnt(5)
	v_mul_f64 v[33:34], v[52:53], v[14:15]
	v_mul_f64 v[14:15], v[50:51], v[14:15]
	v_mul_lo_u32 v37, v66, v78
	s_waitcnt vmcnt(3)
	v_mul_f64 v[35:36], v[40:41], v[44:45]
	v_fma_f64 v[50:51], v[50:51], v[12:13], -v[33:34]
	v_mul_f64 v[33:34], v[38:39], v[44:45]
	v_fma_f64 v[52:53], v[52:53], v[12:13], v[14:15]
	v_bfe_u32 v12, v37, 8, 8
	v_lshlrev_b32_sdwa v13, v28, v37 dst_sel:DWORD dst_unused:UNUSED_PAD src0_sel:DWORD src1_sel:BYTE_0
	v_mul_lo_u32 v45, v66, v72
	v_bfe_u32 v37, v37, 16, 8
	v_add_f64 v[66:67], v[62:63], -v[67:68]
	v_lshl_or_b32 v44, v12, 4, 0x1000
	s_clause 0x1
	global_load_dwordx4 v[12:15], v13, s[16:17]
	global_load_dwordx4 v[29:32], v69, s[16:17]
	v_fma_f64 v[107:108], v[38:39], v[42:43], -v[35:36]
	v_bfe_u32 v38, v45, 16, 8
	v_fma_f64 v[109:110], v[40:41], v[42:43], v[33:34]
	global_load_dwordx4 v[33:36], v44, s[16:17]
	v_lshl_or_b32 v38, v38, 4, 0x2000
	v_lshl_or_b32 v41, v37, 4, 0x2000
	s_clause 0x1
	global_load_dwordx4 v[37:40], v38, s[16:17]
	global_load_dwordx4 v[41:44], v41, s[16:17]
	s_waitcnt vmcnt(2)
	v_mul_f64 v[111:112], v[14:15], v[35:36]
	v_fma_f64 v[111:112], v[12:13], v[33:34], -v[111:112]
	v_mul_f64 v[12:13], v[12:13], v[35:36]
	v_fma_f64 v[113:114], v[14:15], v[33:34], v[12:13]
	v_bfe_u32 v12, v45, 8, 8
	v_lshlrev_b32_sdwa v13, v28, v45 dst_sel:DWORD dst_unused:UNUSED_PAD src0_sel:DWORD src1_sel:BYTE_0
	v_lshl_or_b32 v28, v12, 4, 0x1000
	s_clause 0x1
	global_load_dwordx4 v[12:15], v13, s[16:17]
	global_load_dwordx4 v[33:36], v28, s[16:17]
	s_load_dwordx2 s[0:1], s[2:3], 0x0
	s_mov_b32 s2, 0x667f3bcd
	s_mov_b32 s3, 0x3fe6a09e
	s_waitcnt lgkmcnt(0)
	s_mul_i32 s1, s1, s24
	s_mul_hi_u32 s4, s0, s24
	s_mul_i32 s0, s0, s24
	s_add_i32 s1, s4, s1
	s_mov_b32 s4, s2
	s_lshl_b64 s[0:1], s[0:1], 4
	s_add_u32 s0, s10, s0
	s_addc_u32 s1, s11, s1
	s_waitcnt vmcnt(0)
	v_mul_f64 v[115:116], v[14:15], v[35:36]
	v_fma_f64 v[115:116], v[12:13], v[33:34], -v[115:116]
	v_mul_f64 v[12:13], v[12:13], v[35:36]
	v_mul_f64 v[35:36], v[97:98], v[56:57]
	;; [unrolled: 1-line block ×3, first 2 shown]
	v_fma_f64 v[12:13], v[14:15], v[33:34], v[12:13]
	v_mul_f64 v[14:15], v[93:94], v[60:61]
	v_mul_f64 v[33:34], v[89:90], v[60:61]
	v_fma_f64 v[35:36], v[54:55], v[95:96], -v[35:36]
	v_fma_f64 v[54:55], v[54:55], v[97:98], v[56:57]
	v_mul_f64 v[56:57], v[103:104], v[85:86]
	v_mad_u64_u32 v[60:61], null, s14, v75, 0
	v_mov_b32_e32 v28, v61
	v_fma_f64 v[14:15], v[58:59], v[89:90], -v[14:15]
	v_fma_f64 v[33:34], v[58:59], v[93:94], v[33:34]
	v_mul_f64 v[58:59], v[99:100], v[85:86]
	v_mad_u64_u32 v[85:86], null, s12, v72, 0
	v_mad_u64_u32 v[89:90], null, s12, v78, 0
	;; [unrolled: 1-line block ×3, first 2 shown]
	v_fma_f64 v[56:57], v[83:84], v[99:100], v[56:57]
	v_mov_b32_e32 v45, v86
	v_mov_b32_e32 v61, v90
	v_mad_u64_u32 v[95:96], null, s13, v72, v[45:46]
	v_mad_u64_u32 v[96:97], null, s13, v78, v[61:62]
	;; [unrolled: 1-line block ×3, first 2 shown]
	v_fma_f64 v[62:63], v[62:63], 2.0, -v[66:67]
	v_fma_f64 v[58:59], v[83:84], v[103:104], -v[58:59]
	v_mad_u64_u32 v[83:84], null, s15, v75, v[28:29]
	v_mov_b32_e32 v28, v94
	v_mov_b32_e32 v86, v95
	;; [unrolled: 1-line block ×3, first 2 shown]
	v_mad_u64_u32 v[75:76], null, s13, v76, v[28:29]
	v_mov_b32_e32 v28, v98
	v_mov_b32_e32 v61, v83
	v_mad_u64_u32 v[83:84], null, s12, v71, 0
	v_lshlrev_b64 v[85:86], 4, v[85:86]
	v_mad_u64_u32 v[76:77], null, s13, v77, v[28:29]
	v_mad_u64_u32 v[77:78], null, s12, v70, 0
	v_mov_b32_e32 v94, v75
	v_add_f64 v[62:63], v[0:1], -v[62:63]
	v_lshlrev_b64 v[60:61], 4, v[60:61]
	v_lshlrev_b64 v[89:90], 4, v[89:90]
	v_mov_b32_e32 v98, v76
	v_mad_u64_u32 v[75:76], null, s12, v73, 0
	v_mov_b32_e32 v28, v78
	v_lshlrev_b64 v[93:94], 4, v[93:94]
	v_mad_u64_u32 v[69:70], null, s13, v70, v[28:29]
	v_mov_b32_e32 v28, v84
	v_mad_u64_u32 v[70:71], null, s13, v71, v[28:29]
	v_add_f64 v[71:72], v[2:3], -v[87:88]
	v_mad_u64_u32 v[87:88], null, s12, v74, 0
	v_mov_b32_e32 v28, v76
	v_mov_b32_e32 v78, v69
	v_fma_f64 v[0:1], v[0:1], 2.0, -v[62:63]
	v_mov_b32_e32 v84, v70
	v_add_f64 v[10:11], v[62:63], -v[10:11]
	v_mad_u64_u32 v[69:70], null, s13, v73, v[28:29]
	v_mov_b32_e32 v28, v88
	v_lshlrev_b64 v[77:78], 4, v[77:78]
	v_mad_u64_u32 v[73:74], null, s13, v74, v[28:29]
	v_mov_b32_e32 v76, v69
	v_mul_f64 v[68:69], v[105:106], v[81:82]
	v_add_co_u32 v28, vcc_lo, s0, v64
	v_add_co_ci_u32_e32 v45, vcc_lo, s1, v65, vcc_lo
	v_fma_f64 v[2:3], v[2:3], 2.0, -v[71:72]
	v_add_f64 v[66:67], v[71:72], v[66:67]
	v_mov_b32_e32 v88, v73
	v_mul_f64 v[73:74], v[101:102], v[81:82]
	v_fma_f64 v[64:65], v[20:21], s[4:5], v[8:9]
	v_add_co_u32 v103, vcc_lo, v28, v60
	v_add_co_ci_u32_e32 v104, vcc_lo, v45, v61, vcc_lo
	v_mul_f64 v[60:61], v[50:51], v[31:32]
	v_add_f64 v[99:100], v[0:1], -v[16:17]
	v_mul_f64 v[16:17], v[52:53], v[31:32]
	v_mul_f64 v[31:32], v[109:110], v[48:49]
	v_fma_f64 v[62:63], v[62:63], 2.0, -v[10:11]
	v_add_co_u32 v85, vcc_lo, v103, v85
	v_add_co_ci_u32_e32 v86, vcc_lo, v104, v86, vcc_lo
	v_fma_f64 v[68:69], v[79:80], v[101:102], -v[68:69]
	v_add_co_u32 v89, vcc_lo, v103, v89
	v_add_co_ci_u32_e32 v90, vcc_lo, v104, v90, vcc_lo
	v_fma_f64 v[70:71], v[71:72], 2.0, -v[66:67]
	v_add_f64 v[4:5], v[2:3], -v[4:5]
	v_fma_f64 v[72:73], v[79:80], v[105:106], v[73:74]
	v_fma_f64 v[79:80], v[6:7], s[2:3], v[91:92]
	v_fma_f64 v[81:82], v[26:27], s[2:3], v[66:67]
	v_fma_f64 v[64:65], v[22:23], s[4:5], v[64:65]
	v_add_co_u32 v93, vcc_lo, v103, v93
	v_add_co_ci_u32_e32 v94, vcc_lo, v104, v94, vcc_lo
	v_fma_f64 v[16:17], v[29:30], v[50:51], -v[16:17]
	v_lshlrev_b64 v[74:75], 4, v[75:76]
	v_fma_f64 v[95:96], v[22:23], s[4:5], v[70:71]
	v_fma_f64 v[2:3], v[2:3], 2.0, -v[4:5]
	v_add_f64 v[24:25], v[4:5], v[24:25]
	v_fma_f64 v[26:27], v[26:27], s[4:5], v[79:80]
	v_mul_f64 v[79:80], v[111:112], v[43:44]
	v_fma_f64 v[6:7], v[6:7], s[2:3], v[81:82]
	v_mul_f64 v[81:82], v[107:108], v[48:49]
	;; [unrolled: 2-line block ×3, first 2 shown]
	v_fma_f64 v[8:9], v[8:9], 2.0, -v[64:65]
	v_lshlrev_b64 v[60:61], 4, v[97:98]
	v_add_co_u32 v60, vcc_lo, v103, v60
	v_add_co_ci_u32_e32 v61, vcc_lo, v104, v61, vcc_lo
	v_fma_f64 v[20:21], v[20:21], s[2:3], v[95:96]
	v_mul_f64 v[95:96], v[115:116], v[39:40]
	v_add_f64 v[18:19], v[2:3], -v[18:19]
	v_mul_f64 v[39:40], v[12:13], v[39:40]
	v_fma_f64 v[52:53], v[41:42], v[113:114], v[79:80]
	v_lshlrev_b64 v[79:80], 4, v[83:84]
	v_fma_f64 v[83:84], v[91:92], 2.0, -v[26:27]
	v_fma_f64 v[91:92], v[0:1], 2.0, -v[99:100]
	v_fma_f64 v[48:49], v[46:47], v[109:110], v[81:82]
	v_lshlrev_b64 v[81:82], 4, v[87:88]
	v_fma_f64 v[87:88], v[4:5], 2.0, -v[24:25]
	v_fma_f64 v[66:67], v[66:67], 2.0, -v[6:7]
	v_fma_f64 v[45:46], v[46:47], v[107:108], -v[31:32]
	v_mul_f64 v[0:1], v[26:27], v[33:34]
	v_mul_f64 v[30:31], v[10:11], v[54:55]
	v_fma_f64 v[41:42], v[41:42], v[111:112], -v[43:44]
	v_mul_f64 v[4:5], v[6:7], v[33:34]
	v_mul_f64 v[43:44], v[99:100], v[72:73]
	;; [unrolled: 1-line block ×3, first 2 shown]
	v_fma_f64 v[70:71], v[70:71], 2.0, -v[20:21]
	v_fma_f64 v[12:13], v[37:38], v[12:13], v[95:96]
	v_fma_f64 v[95:96], v[2:3], 2.0, -v[18:19]
	v_fma_f64 v[28:29], v[37:38], v[115:116], -v[39:40]
	v_mul_f64 v[50:51], v[18:19], v[72:73]
	v_mul_f64 v[72:73], v[8:9], v[52:53]
	;; [unrolled: 1-line block ×8, first 2 shown]
	v_fma_f64 v[2:3], v[6:7], v[14:15], v[0:1]
	v_fma_f64 v[6:7], v[24:25], v[35:36], v[30:31]
	v_fma_f64 v[0:1], v[26:27], v[14:15], -v[4:5]
	v_fma_f64 v[14:15], v[18:19], v[68:69], v[43:44]
	v_fma_f64 v[4:5], v[10:11], v[35:36], -v[32:33]
	v_add_co_u32 v32, vcc_lo, v103, v77
	v_add_co_ci_u32_e32 v33, vcc_lo, v104, v78, vcc_lo
	v_mul_f64 v[97:98], v[91:92], v[12:13]
	v_mul_f64 v[12:13], v[95:96], v[12:13]
	v_mul_f64 v[52:53], v[70:71], v[52:53]
	v_add_co_u32 v34, vcc_lo, v103, v79
	v_fma_f64 v[26:27], v[70:71], v[41:42], v[72:73]
	v_fma_f64 v[10:11], v[20:21], v[58:59], v[37:38]
	;; [unrolled: 1-line block ×4, first 2 shown]
	v_fma_f64 v[20:21], v[62:63], v[45:46], -v[47:48]
	v_fma_f64 v[16:17], v[83:84], v[16:17], -v[101:102]
	v_add_co_ci_u32_e32 v35, vcc_lo, v104, v80, vcc_lo
	v_add_co_u32 v36, vcc_lo, v103, v74
	v_add_co_ci_u32_e32 v37, vcc_lo, v104, v75, vcc_lo
	v_add_co_u32 v38, vcc_lo, v103, v81
	v_fma_f64 v[30:31], v[95:96], v[28:29], v[97:98]
	v_fma_f64 v[28:29], v[91:92], v[28:29], -v[12:13]
	v_fma_f64 v[24:25], v[8:9], v[41:42], -v[52:53]
	;; [unrolled: 1-line block ×4, first 2 shown]
	v_add_co_ci_u32_e32 v39, vcc_lo, v104, v82, vcc_lo
	global_store_dwordx4 v[85:86], v[28:31], off
	global_store_dwordx4 v[89:90], v[24:27], off
	;; [unrolled: 1-line block ×8, first 2 shown]
.LBB0_21:
	s_endpgm
	.section	.rodata,"a",@progbits
	.p2align	6, 0x0
	.amdhsa_kernel fft_rtc_fwd_len128_factors_16_8_wgs_256_tpt_16_dp_op_CI_CI_sbcc_twdbase8_3step_dirReg
		.amdhsa_group_segment_fixed_size 0
		.amdhsa_private_segment_fixed_size 0
		.amdhsa_kernarg_size 112
		.amdhsa_user_sgpr_count 6
		.amdhsa_user_sgpr_private_segment_buffer 1
		.amdhsa_user_sgpr_dispatch_ptr 0
		.amdhsa_user_sgpr_queue_ptr 0
		.amdhsa_user_sgpr_kernarg_segment_ptr 1
		.amdhsa_user_sgpr_dispatch_id 0
		.amdhsa_user_sgpr_flat_scratch_init 0
		.amdhsa_user_sgpr_private_segment_size 0
		.amdhsa_wavefront_size32 1
		.amdhsa_uses_dynamic_stack 0
		.amdhsa_system_sgpr_private_segment_wavefront_offset 0
		.amdhsa_system_sgpr_workgroup_id_x 1
		.amdhsa_system_sgpr_workgroup_id_y 0
		.amdhsa_system_sgpr_workgroup_id_z 0
		.amdhsa_system_sgpr_workgroup_info 0
		.amdhsa_system_vgpr_workitem_id 0
		.amdhsa_next_free_vgpr 117
		.amdhsa_next_free_sgpr 55
		.amdhsa_reserve_vcc 1
		.amdhsa_reserve_flat_scratch 0
		.amdhsa_float_round_mode_32 0
		.amdhsa_float_round_mode_16_64 0
		.amdhsa_float_denorm_mode_32 3
		.amdhsa_float_denorm_mode_16_64 3
		.amdhsa_dx10_clamp 1
		.amdhsa_ieee_mode 1
		.amdhsa_fp16_overflow 0
		.amdhsa_workgroup_processor_mode 1
		.amdhsa_memory_ordered 1
		.amdhsa_forward_progress 0
		.amdhsa_shared_vgpr_count 0
		.amdhsa_exception_fp_ieee_invalid_op 0
		.amdhsa_exception_fp_denorm_src 0
		.amdhsa_exception_fp_ieee_div_zero 0
		.amdhsa_exception_fp_ieee_overflow 0
		.amdhsa_exception_fp_ieee_underflow 0
		.amdhsa_exception_fp_ieee_inexact 0
		.amdhsa_exception_int_div_zero 0
	.end_amdhsa_kernel
	.text
.Lfunc_end0:
	.size	fft_rtc_fwd_len128_factors_16_8_wgs_256_tpt_16_dp_op_CI_CI_sbcc_twdbase8_3step_dirReg, .Lfunc_end0-fft_rtc_fwd_len128_factors_16_8_wgs_256_tpt_16_dp_op_CI_CI_sbcc_twdbase8_3step_dirReg
                                        ; -- End function
	.section	.AMDGPU.csdata,"",@progbits
; Kernel info:
; codeLenInByte = 7812
; NumSgprs: 57
; NumVgprs: 117
; ScratchSize: 0
; MemoryBound: 1
; FloatMode: 240
; IeeeMode: 1
; LDSByteSize: 0 bytes/workgroup (compile time only)
; SGPRBlocks: 7
; VGPRBlocks: 14
; NumSGPRsForWavesPerEU: 57
; NumVGPRsForWavesPerEU: 117
; Occupancy: 8
; WaveLimiterHint : 1
; COMPUTE_PGM_RSRC2:SCRATCH_EN: 0
; COMPUTE_PGM_RSRC2:USER_SGPR: 6
; COMPUTE_PGM_RSRC2:TRAP_HANDLER: 0
; COMPUTE_PGM_RSRC2:TGID_X_EN: 1
; COMPUTE_PGM_RSRC2:TGID_Y_EN: 0
; COMPUTE_PGM_RSRC2:TGID_Z_EN: 0
; COMPUTE_PGM_RSRC2:TIDIG_COMP_CNT: 0
	.text
	.p2alignl 6, 3214868480
	.fill 48, 4, 3214868480
	.type	__hip_cuid_275de807bbf61472,@object ; @__hip_cuid_275de807bbf61472
	.section	.bss,"aw",@nobits
	.globl	__hip_cuid_275de807bbf61472
__hip_cuid_275de807bbf61472:
	.byte	0                               ; 0x0
	.size	__hip_cuid_275de807bbf61472, 1

	.ident	"AMD clang version 19.0.0git (https://github.com/RadeonOpenCompute/llvm-project roc-6.4.0 25133 c7fe45cf4b819c5991fe208aaa96edf142730f1d)"
	.section	".note.GNU-stack","",@progbits
	.addrsig
	.addrsig_sym __hip_cuid_275de807bbf61472
	.amdgpu_metadata
---
amdhsa.kernels:
  - .args:
      - .actual_access:  read_only
        .address_space:  global
        .offset:         0
        .size:           8
        .value_kind:     global_buffer
      - .address_space:  global
        .offset:         8
        .size:           8
        .value_kind:     global_buffer
      - .offset:         16
        .size:           8
        .value_kind:     by_value
      - .actual_access:  read_only
        .address_space:  global
        .offset:         24
        .size:           8
        .value_kind:     global_buffer
      - .actual_access:  read_only
        .address_space:  global
        .offset:         32
        .size:           8
        .value_kind:     global_buffer
      - .actual_access:  read_only
        .address_space:  global
        .offset:         40
        .size:           8
        .value_kind:     global_buffer
      - .offset:         48
        .size:           8
        .value_kind:     by_value
      - .actual_access:  read_only
        .address_space:  global
        .offset:         56
        .size:           8
        .value_kind:     global_buffer
      - .actual_access:  read_only
        .address_space:  global
        .offset:         64
        .size:           8
        .value_kind:     global_buffer
      - .offset:         72
        .size:           4
        .value_kind:     by_value
      - .actual_access:  read_only
        .address_space:  global
        .offset:         80
        .size:           8
        .value_kind:     global_buffer
      - .actual_access:  read_only
        .address_space:  global
        .offset:         88
        .size:           8
        .value_kind:     global_buffer
      - .actual_access:  read_only
        .address_space:  global
        .offset:         96
        .size:           8
        .value_kind:     global_buffer
      - .actual_access:  write_only
        .address_space:  global
        .offset:         104
        .size:           8
        .value_kind:     global_buffer
    .group_segment_fixed_size: 0
    .kernarg_segment_align: 8
    .kernarg_segment_size: 112
    .language:       OpenCL C
    .language_version:
      - 2
      - 0
    .max_flat_workgroup_size: 256
    .name:           fft_rtc_fwd_len128_factors_16_8_wgs_256_tpt_16_dp_op_CI_CI_sbcc_twdbase8_3step_dirReg
    .private_segment_fixed_size: 0
    .sgpr_count:     57
    .sgpr_spill_count: 0
    .symbol:         fft_rtc_fwd_len128_factors_16_8_wgs_256_tpt_16_dp_op_CI_CI_sbcc_twdbase8_3step_dirReg.kd
    .uniform_work_group_size: 1
    .uses_dynamic_stack: false
    .vgpr_count:     117
    .vgpr_spill_count: 0
    .wavefront_size: 32
    .workgroup_processor_mode: 1
amdhsa.target:   amdgcn-amd-amdhsa--gfx1030
amdhsa.version:
  - 1
  - 2
...

	.end_amdgpu_metadata
